;; amdgpu-corpus repo=ROCm/rocFFT kind=compiled arch=gfx906 opt=O3
	.text
	.amdgcn_target "amdgcn-amd-amdhsa--gfx906"
	.amdhsa_code_object_version 6
	.protected	fft_rtc_fwd_len1944_factors_3_3_3_3_8_3_wgs_243_tpt_243_halfLds_half_ip_CI_unitstride_sbrr_R2C_dirReg ; -- Begin function fft_rtc_fwd_len1944_factors_3_3_3_3_8_3_wgs_243_tpt_243_halfLds_half_ip_CI_unitstride_sbrr_R2C_dirReg
	.globl	fft_rtc_fwd_len1944_factors_3_3_3_3_8_3_wgs_243_tpt_243_halfLds_half_ip_CI_unitstride_sbrr_R2C_dirReg
	.p2align	8
	.type	fft_rtc_fwd_len1944_factors_3_3_3_3_8_3_wgs_243_tpt_243_halfLds_half_ip_CI_unitstride_sbrr_R2C_dirReg,@function
fft_rtc_fwd_len1944_factors_3_3_3_3_8_3_wgs_243_tpt_243_halfLds_half_ip_CI_unitstride_sbrr_R2C_dirReg: ; @fft_rtc_fwd_len1944_factors_3_3_3_3_8_3_wgs_243_tpt_243_halfLds_half_ip_CI_unitstride_sbrr_R2C_dirReg
; %bb.0:
	s_load_dwordx2 s[12:13], s[4:5], 0x50
	s_load_dwordx4 s[8:11], s[4:5], 0x0
	s_load_dwordx2 s[2:3], s[4:5], 0x18
	v_mul_u32_u24_e32 v1, 0x10e, v0
	v_add_u32_sdwa v5, s6, v1 dst_sel:DWORD dst_unused:UNUSED_PAD src0_sel:DWORD src1_sel:WORD_1
	v_mov_b32_e32 v3, 0
	s_waitcnt lgkmcnt(0)
	v_cmp_lt_u64_e64 s[0:1], s[10:11], 2
	v_mov_b32_e32 v1, 0
	v_mov_b32_e32 v6, v3
	s_and_b64 vcc, exec, s[0:1]
	v_mov_b32_e32 v2, 0
	s_cbranch_vccnz .LBB0_8
; %bb.1:
	s_load_dwordx2 s[0:1], s[4:5], 0x10
	s_add_u32 s6, s2, 8
	s_addc_u32 s7, s3, 0
	v_mov_b32_e32 v1, 0
	v_mov_b32_e32 v2, 0
	s_waitcnt lgkmcnt(0)
	s_add_u32 s14, s0, 8
	s_addc_u32 s15, s1, 0
	s_mov_b64 s[16:17], 1
.LBB0_2:                                ; =>This Inner Loop Header: Depth=1
	s_load_dwordx2 s[18:19], s[14:15], 0x0
                                        ; implicit-def: $vgpr7_vgpr8
	s_waitcnt lgkmcnt(0)
	v_or_b32_e32 v4, s19, v6
	v_cmp_ne_u64_e32 vcc, 0, v[3:4]
	s_and_saveexec_b64 s[0:1], vcc
	s_xor_b64 s[20:21], exec, s[0:1]
	s_cbranch_execz .LBB0_4
; %bb.3:                                ;   in Loop: Header=BB0_2 Depth=1
	v_cvt_f32_u32_e32 v4, s18
	v_cvt_f32_u32_e32 v7, s19
	s_sub_u32 s0, 0, s18
	s_subb_u32 s1, 0, s19
	v_mac_f32_e32 v4, 0x4f800000, v7
	v_rcp_f32_e32 v4, v4
	v_mul_f32_e32 v4, 0x5f7ffffc, v4
	v_mul_f32_e32 v7, 0x2f800000, v4
	v_trunc_f32_e32 v7, v7
	v_mac_f32_e32 v4, 0xcf800000, v7
	v_cvt_u32_f32_e32 v7, v7
	v_cvt_u32_f32_e32 v4, v4
	v_mul_lo_u32 v8, s0, v7
	v_mul_hi_u32 v9, s0, v4
	v_mul_lo_u32 v11, s1, v4
	v_mul_lo_u32 v10, s0, v4
	v_add_u32_e32 v8, v9, v8
	v_add_u32_e32 v8, v8, v11
	v_mul_hi_u32 v9, v4, v10
	v_mul_lo_u32 v11, v4, v8
	v_mul_hi_u32 v13, v4, v8
	v_mul_hi_u32 v12, v7, v10
	v_mul_lo_u32 v10, v7, v10
	v_mul_hi_u32 v14, v7, v8
	v_add_co_u32_e32 v9, vcc, v9, v11
	v_addc_co_u32_e32 v11, vcc, 0, v13, vcc
	v_mul_lo_u32 v8, v7, v8
	v_add_co_u32_e32 v9, vcc, v9, v10
	v_addc_co_u32_e32 v9, vcc, v11, v12, vcc
	v_addc_co_u32_e32 v10, vcc, 0, v14, vcc
	v_add_co_u32_e32 v8, vcc, v9, v8
	v_addc_co_u32_e32 v9, vcc, 0, v10, vcc
	v_add_co_u32_e32 v4, vcc, v4, v8
	v_addc_co_u32_e32 v7, vcc, v7, v9, vcc
	v_mul_lo_u32 v8, s0, v7
	v_mul_hi_u32 v9, s0, v4
	v_mul_lo_u32 v10, s1, v4
	v_mul_lo_u32 v11, s0, v4
	v_add_u32_e32 v8, v9, v8
	v_add_u32_e32 v8, v8, v10
	v_mul_lo_u32 v12, v4, v8
	v_mul_hi_u32 v13, v4, v11
	v_mul_hi_u32 v14, v4, v8
	;; [unrolled: 1-line block ×3, first 2 shown]
	v_mul_lo_u32 v11, v7, v11
	v_mul_hi_u32 v9, v7, v8
	v_add_co_u32_e32 v12, vcc, v13, v12
	v_addc_co_u32_e32 v13, vcc, 0, v14, vcc
	v_mul_lo_u32 v8, v7, v8
	v_add_co_u32_e32 v11, vcc, v12, v11
	v_addc_co_u32_e32 v10, vcc, v13, v10, vcc
	v_addc_co_u32_e32 v9, vcc, 0, v9, vcc
	v_add_co_u32_e32 v8, vcc, v10, v8
	v_addc_co_u32_e32 v9, vcc, 0, v9, vcc
	v_add_co_u32_e32 v4, vcc, v4, v8
	v_addc_co_u32_e32 v9, vcc, v7, v9, vcc
	v_mad_u64_u32 v[7:8], s[0:1], v5, v9, 0
	v_mul_hi_u32 v10, v5, v4
	v_add_co_u32_e32 v11, vcc, v10, v7
	v_addc_co_u32_e32 v12, vcc, 0, v8, vcc
	v_mad_u64_u32 v[7:8], s[0:1], v6, v4, 0
	v_mad_u64_u32 v[9:10], s[0:1], v6, v9, 0
	v_add_co_u32_e32 v4, vcc, v11, v7
	v_addc_co_u32_e32 v4, vcc, v12, v8, vcc
	v_addc_co_u32_e32 v7, vcc, 0, v10, vcc
	v_add_co_u32_e32 v4, vcc, v4, v9
	v_addc_co_u32_e32 v9, vcc, 0, v7, vcc
	v_mul_lo_u32 v10, s19, v4
	v_mul_lo_u32 v11, s18, v9
	v_mad_u64_u32 v[7:8], s[0:1], s18, v4, 0
	v_add3_u32 v8, v8, v11, v10
	v_sub_u32_e32 v10, v6, v8
	v_mov_b32_e32 v11, s19
	v_sub_co_u32_e32 v7, vcc, v5, v7
	v_subb_co_u32_e64 v10, s[0:1], v10, v11, vcc
	v_subrev_co_u32_e64 v11, s[0:1], s18, v7
	v_subbrev_co_u32_e64 v10, s[0:1], 0, v10, s[0:1]
	v_cmp_le_u32_e64 s[0:1], s19, v10
	v_cndmask_b32_e64 v12, 0, -1, s[0:1]
	v_cmp_le_u32_e64 s[0:1], s18, v11
	v_cndmask_b32_e64 v11, 0, -1, s[0:1]
	v_cmp_eq_u32_e64 s[0:1], s19, v10
	v_cndmask_b32_e64 v10, v12, v11, s[0:1]
	v_add_co_u32_e64 v11, s[0:1], 2, v4
	v_addc_co_u32_e64 v12, s[0:1], 0, v9, s[0:1]
	v_add_co_u32_e64 v13, s[0:1], 1, v4
	v_addc_co_u32_e64 v14, s[0:1], 0, v9, s[0:1]
	v_subb_co_u32_e32 v8, vcc, v6, v8, vcc
	v_cmp_ne_u32_e64 s[0:1], 0, v10
	v_cmp_le_u32_e32 vcc, s19, v8
	v_cndmask_b32_e64 v10, v14, v12, s[0:1]
	v_cndmask_b32_e64 v12, 0, -1, vcc
	v_cmp_le_u32_e32 vcc, s18, v7
	v_cndmask_b32_e64 v7, 0, -1, vcc
	v_cmp_eq_u32_e32 vcc, s19, v8
	v_cndmask_b32_e32 v7, v12, v7, vcc
	v_cmp_ne_u32_e32 vcc, 0, v7
	v_cndmask_b32_e64 v7, v13, v11, s[0:1]
	v_cndmask_b32_e32 v8, v9, v10, vcc
	v_cndmask_b32_e32 v7, v4, v7, vcc
.LBB0_4:                                ;   in Loop: Header=BB0_2 Depth=1
	s_andn2_saveexec_b64 s[0:1], s[20:21]
	s_cbranch_execz .LBB0_6
; %bb.5:                                ;   in Loop: Header=BB0_2 Depth=1
	v_cvt_f32_u32_e32 v4, s18
	s_sub_i32 s20, 0, s18
	v_rcp_iflag_f32_e32 v4, v4
	v_mul_f32_e32 v4, 0x4f7ffffe, v4
	v_cvt_u32_f32_e32 v4, v4
	v_mul_lo_u32 v7, s20, v4
	v_mul_hi_u32 v7, v4, v7
	v_add_u32_e32 v4, v4, v7
	v_mul_hi_u32 v4, v5, v4
	v_mul_lo_u32 v7, v4, s18
	v_add_u32_e32 v8, 1, v4
	v_sub_u32_e32 v7, v5, v7
	v_subrev_u32_e32 v9, s18, v7
	v_cmp_le_u32_e32 vcc, s18, v7
	v_cndmask_b32_e32 v7, v7, v9, vcc
	v_cndmask_b32_e32 v4, v4, v8, vcc
	v_add_u32_e32 v8, 1, v4
	v_cmp_le_u32_e32 vcc, s18, v7
	v_cndmask_b32_e32 v7, v4, v8, vcc
	v_mov_b32_e32 v8, v3
.LBB0_6:                                ;   in Loop: Header=BB0_2 Depth=1
	s_or_b64 exec, exec, s[0:1]
	v_mul_lo_u32 v4, v8, s18
	v_mul_lo_u32 v11, v7, s19
	v_mad_u64_u32 v[9:10], s[0:1], v7, s18, 0
	s_load_dwordx2 s[0:1], s[6:7], 0x0
	s_add_u32 s16, s16, 1
	v_add3_u32 v4, v10, v11, v4
	v_sub_co_u32_e32 v5, vcc, v5, v9
	v_subb_co_u32_e32 v4, vcc, v6, v4, vcc
	s_waitcnt lgkmcnt(0)
	v_mul_lo_u32 v4, s0, v4
	v_mul_lo_u32 v6, s1, v5
	v_mad_u64_u32 v[1:2], s[0:1], s0, v5, v[1:2]
	s_addc_u32 s17, s17, 0
	s_add_u32 s6, s6, 8
	v_add3_u32 v2, v6, v2, v4
	v_mov_b32_e32 v4, s10
	v_mov_b32_e32 v5, s11
	s_addc_u32 s7, s7, 0
	v_cmp_ge_u64_e32 vcc, s[16:17], v[4:5]
	s_add_u32 s14, s14, 8
	s_addc_u32 s15, s15, 0
	s_cbranch_vccnz .LBB0_9
; %bb.7:                                ;   in Loop: Header=BB0_2 Depth=1
	v_mov_b32_e32 v5, v7
	v_mov_b32_e32 v6, v8
	s_branch .LBB0_2
.LBB0_8:
	v_mov_b32_e32 v8, v6
	v_mov_b32_e32 v7, v5
.LBB0_9:
	s_lshl_b64 s[0:1], s[10:11], 3
	s_add_u32 s0, s2, s0
	s_addc_u32 s1, s3, s1
	s_load_dwordx2 s[2:3], s[0:1], 0x0
	s_load_dwordx2 s[6:7], s[4:5], 0x20
                                        ; implicit-def: $vgpr6
	s_waitcnt lgkmcnt(0)
	v_mad_u64_u32 v[1:2], s[0:1], s2, v7, v[1:2]
	s_mov_b32 s0, 0x10db20b
	v_mul_lo_u32 v3, s2, v8
	v_mul_lo_u32 v4, s3, v7
	v_mul_hi_u32 v5, v0, s0
	v_cmp_gt_u64_e64 s[0:1], s[6:7], v[7:8]
	v_cmp_le_u64_e32 vcc, s[6:7], v[7:8]
	v_add3_u32 v2, v4, v2, v3
	v_mul_u32_u24_e32 v3, 0xf3, v5
	v_sub_u32_e32 v0, v0, v3
                                        ; implicit-def: $vgpr4
	s_and_saveexec_b64 s[2:3], vcc
	s_xor_b64 s[2:3], exec, s[2:3]
; %bb.10:
	v_add_u32_e32 v4, 0xf3, v0
	v_add_u32_e32 v6, 0x1e6, v0
; %bb.11:
	s_or_saveexec_b64 s[2:3], s[2:3]
	v_lshlrev_b64 v[2:3], 2, v[1:2]
	v_lshl_add_u32 v13, v0, 2, 0
	s_xor_b64 exec, exec, s[2:3]
	s_cbranch_execz .LBB0_13
; %bb.12:
	v_mov_b32_e32 v1, 0
	v_mov_b32_e32 v4, s13
	v_add_co_u32_e32 v6, vcc, s12, v2
	v_addc_co_u32_e32 v7, vcc, v4, v3, vcc
	v_lshlrev_b64 v[4:5], 2, v[0:1]
	v_add_u32_e32 v16, 0x16c0, v13
	v_add_co_u32_e32 v4, vcc, v6, v4
	v_addc_co_u32_e32 v5, vcc, v7, v5, vcc
	v_add_co_u32_e32 v6, vcc, 0x1000, v4
	v_addc_co_u32_e32 v7, vcc, 0, v5, vcc
	global_load_dword v1, v[4:5], off
	global_load_dword v8, v[4:5], off offset:972
	global_load_dword v9, v[4:5], off offset:1944
	;; [unrolled: 1-line block ×7, first 2 shown]
	v_add_u32_e32 v4, 0xf3, v0
	v_add_u32_e32 v6, 0x1e6, v0
	;; [unrolled: 1-line block ×4, first 2 shown]
	s_waitcnt vmcnt(6)
	ds_write2_b32 v13, v1, v8 offset1:243
	s_waitcnt vmcnt(4)
	ds_write2_b32 v5, v9, v10 offset0:6 offset1:249
	s_waitcnt vmcnt(2)
	ds_write2_b32 v7, v11, v12 offset0:12 offset1:255
	;; [unrolled: 2-line block ×3, first 2 shown]
.LBB0_13:
	s_or_b64 exec, exec, s[2:3]
	v_add_u32_e32 v1, 0x700, v13
	s_waitcnt lgkmcnt(0)
	s_barrier
	ds_read2_b32 v[7:8], v1 offset0:38 offset1:200
	v_add_u32_e32 v1, 0xdc0, v13
	ds_read2_b32 v[10:11], v1 offset0:11 offset1:254
	ds_read_b32 v1, v13 offset:7128
	ds_read2_b32 v[16:17], v13 offset1:243
	s_movk_i32 s2, 0x3aee
	s_mov_b32 s4, 0xffff
	s_waitcnt lgkmcnt(2)
	v_pk_add_f16 v5, v7, v11
	s_waitcnt lgkmcnt(1)
	v_pk_add_f16 v9, v11, v1
	v_pk_fma_f16 v7, v9, 0.5, v7 op_sel_hi:[1,0,1] neg_lo:[1,0,0] neg_hi:[1,0,0]
	v_add_u32_e32 v9, 0x1440, v13
	ds_read2_b32 v[18:19], v9 offset1:243
	v_pk_add_f16 v5, v5, v1
	v_pk_add_f16 v1, v11, v1 neg_lo:[0,1] neg_hi:[0,1]
	v_pk_mul_f16 v1, v1, s2 op_sel_hi:[1,0]
	v_pk_add_f16 v11, v7, v1 op_sel:[0,1] op_sel_hi:[1,0] neg_lo:[0,1] neg_hi:[0,1]
	v_pk_add_f16 v15, v7, v1 op_sel:[0,1] op_sel_hi:[1,0]
	s_waitcnt lgkmcnt(1)
	v_pk_add_f16 v1, v16, v8
	s_waitcnt lgkmcnt(0)
	v_pk_add_f16 v12, v8, v18
	v_pk_add_f16 v8, v8, v18 neg_lo:[0,1] neg_hi:[0,1]
	v_pk_fma_f16 v12, v12, 0.5, v16 op_sel_hi:[1,0,1] neg_lo:[1,0,0] neg_hi:[1,0,0]
	v_pk_mul_f16 v8, v8, s2 op_sel_hi:[1,0]
	v_pk_add_f16 v14, v12, v8 op_sel:[0,1] op_sel_hi:[1,0]
	v_pk_add_f16 v8, v12, v8 op_sel:[0,1] op_sel_hi:[1,0] neg_lo:[0,1] neg_hi:[0,1]
	v_lshl_add_u32 v7, v0, 3, v13
	v_pk_add_f16 v1, v1, v18
	v_bfi_b32 v12, s4, v14, v8
	v_bfi_b32 v8, s4, v8, v14
	s_barrier
	ds_write2_b32 v7, v1, v12 offset1:1
	ds_write_b32 v7, v8 offset:8
	v_pk_add_f16 v7, v10, v19
	v_pk_add_f16 v8, v10, v19 neg_lo:[0,1] neg_hi:[0,1]
	v_pk_fma_f16 v7, v7, 0.5, v17 op_sel_hi:[1,0,1] neg_lo:[1,0,0] neg_hi:[1,0,0]
	v_pk_mul_f16 v8, v8, s2 op_sel_hi:[1,0]
	v_pk_add_f16 v12, v17, v10
	v_pk_add_f16 v10, v7, v8 op_sel:[0,1] op_sel_hi:[1,0]
	v_pk_add_f16 v7, v7, v8 op_sel:[0,1] op_sel_hi:[1,0] neg_lo:[0,1] neg_hi:[0,1]
	s_movk_i32 s2, 0xa2
	v_lshrrev_b32_e32 v16, 16, v15
	v_mad_i32_i24 v1, v4, 12, 0
	v_pk_add_f16 v12, v12, v19
	v_bfi_b32 v8, s4, v10, v7
	v_bfi_b32 v7, s4, v7, v10
	v_cmp_gt_u32_e32 vcc, s2, v0
	ds_write2_b32 v1, v12, v8 offset1:1
	ds_write_b32 v1, v7 offset:8
	s_and_saveexec_b64 s[2:3], vcc
	s_cbranch_execz .LBB0_15
; %bb.14:
	v_bfi_b32 v7, s4, v15, v11
	v_mad_i32_i24 v8, v6, 12, 0
	s_mov_b32 s4, 0x5040100
	ds_write2_b32 v8, v5, v7 offset1:1
	v_perm_b32 v7, v16, v11, s4
	ds_write_b32 v8, v7 offset:8
.LBB0_15:
	s_or_b64 exec, exec, s[2:3]
	v_add_u32_e32 v7, 0xa00, v13
	v_lshlrev_b32_e32 v12, 3, v4
	s_waitcnt lgkmcnt(0)
	s_barrier
	ds_read_u16 v17, v13 offset:2
	ds_read2_b32 v[7:8], v7 offset0:8 offset1:251
	ds_read2_b32 v[9:10], v9 offset1:243
	v_sub_u32_e32 v14, v1, v12
	ds_read_b32 v19, v13
	ds_read_b32 v18, v14
	v_lshrrev_b32_e32 v20, 16, v11
	v_lshl_add_u32 v14, v6, 2, 0
	s_and_saveexec_b64 s[2:3], vcc
	s_cbranch_execz .LBB0_17
; %bb.16:
	ds_read_b32 v15, v13 offset:4536
	ds_read_b32 v11, v13 offset:7128
	ds_read_b32 v5, v14
	s_waitcnt lgkmcnt(2)
	v_lshrrev_b32_e32 v20, 16, v15
	s_waitcnt lgkmcnt(1)
	v_lshrrev_b32_e32 v16, 16, v11
.LBB0_17:
	s_or_b64 exec, exec, s[2:3]
	s_movk_i32 s2, 0xab
	v_mul_lo_u16_sdwa v21, v0, s2 dst_sel:DWORD dst_unused:UNUSED_PAD src0_sel:BYTE_0 src1_sel:DWORD
	v_lshrrev_b16_e32 v29, 9, v21
	v_mul_lo_u16_e32 v21, 3, v29
	v_sub_u16_e32 v30, v0, v21
	v_mov_b32_e32 v21, 3
	v_lshlrev_b32_sdwa v21, v21, v30 dst_sel:DWORD dst_unused:UNUSED_PAD src0_sel:DWORD src1_sel:BYTE_0
	s_mov_b32 s2, 0xaaab
	global_load_dwordx2 v[23:24], v21, s[8:9]
	v_mul_u32_u24_sdwa v21, v4, s2 dst_sel:DWORD dst_unused:UNUSED_PAD src0_sel:WORD_0 src1_sel:DWORD
	v_lshrrev_b32_e32 v31, 17, v21
	v_mul_lo_u16_e32 v21, 3, v31
	v_sub_u16_e32 v32, v4, v21
	v_lshlrev_b32_e32 v21, 3, v32
	global_load_dwordx2 v[25:26], v21, s[8:9]
	v_mul_u32_u24_sdwa v21, v6, s2 dst_sel:DWORD dst_unused:UNUSED_PAD src0_sel:WORD_0 src1_sel:DWORD
	v_lshrrev_b32_e32 v21, 17, v21
	v_mul_lo_u16_e32 v22, 3, v21
	v_sub_u16_e32 v22, v6, v22
	v_lshlrev_b32_e32 v27, 3, v22
	global_load_dwordx2 v[27:28], v27, s[8:9]
	s_waitcnt lgkmcnt(3)
	v_lshrrev_b32_e32 v33, 16, v7
	s_waitcnt lgkmcnt(2)
	v_lshrrev_b32_e32 v34, 16, v9
	v_lshrrev_b32_e32 v35, 16, v8
	v_mul_u32_u24_e32 v29, 36, v29
	s_movk_i32 s2, 0x3aee
	s_mov_b32 s3, 0xbaee
	s_waitcnt vmcnt(0) lgkmcnt(0)
	s_barrier
	v_sub_u32_e32 v12, 0, v12
	v_mul_f16_sdwa v36, v23, v7 dst_sel:DWORD dst_unused:UNUSED_PAD src0_sel:WORD_1 src1_sel:DWORD
	v_mul_f16_sdwa v37, v23, v33 dst_sel:DWORD dst_unused:UNUSED_PAD src0_sel:WORD_1 src1_sel:DWORD
	v_fma_f16 v33, v23, v33, v36
	v_mul_f16_sdwa v36, v24, v9 dst_sel:DWORD dst_unused:UNUSED_PAD src0_sel:WORD_1 src1_sel:DWORD
	v_fma_f16 v36, v24, v34, v36
	v_mul_f16_sdwa v34, v24, v34 dst_sel:DWORD dst_unused:UNUSED_PAD src0_sel:WORD_1 src1_sel:DWORD
	v_fma_f16 v9, v24, v9, -v34
	v_mov_b32_e32 v24, 2
	v_fma_f16 v7, v23, v7, -v37
	v_lshrrev_b32_e32 v23, 16, v10
	v_lshlrev_b32_sdwa v24, v24, v30 dst_sel:DWORD dst_unused:UNUSED_PAD src0_sel:DWORD src1_sel:BYTE_0
	v_add3_u32 v24, 0, v29, v24
	v_mul_f16_sdwa v29, v25, v35 dst_sel:DWORD dst_unused:UNUSED_PAD src0_sel:WORD_1 src1_sel:DWORD
	v_mul_f16_sdwa v34, v26, v23 dst_sel:DWORD dst_unused:UNUSED_PAD src0_sel:WORD_1 src1_sel:DWORD
	v_fma_f16 v29, v25, v8, -v29
	v_mul_f16_sdwa v8, v25, v8 dst_sel:DWORD dst_unused:UNUSED_PAD src0_sel:WORD_1 src1_sel:DWORD
	v_fma_f16 v34, v26, v10, -v34
	v_mul_f16_sdwa v10, v26, v10 dst_sel:DWORD dst_unused:UNUSED_PAD src0_sel:WORD_1 src1_sel:DWORD
	v_mul_f16_sdwa v37, v20, v27 dst_sel:DWORD dst_unused:UNUSED_PAD src0_sel:DWORD src1_sel:WORD_1
	v_fma_f16 v8, v25, v35, v8
	v_mul_f16_sdwa v25, v15, v27 dst_sel:DWORD dst_unused:UNUSED_PAD src0_sel:DWORD src1_sel:WORD_1
	v_fma_f16 v10, v26, v23, v10
	v_mul_f16_sdwa v23, v16, v28 dst_sel:DWORD dst_unused:UNUSED_PAD src0_sel:DWORD src1_sel:WORD_1
	v_mul_f16_sdwa v26, v11, v28 dst_sel:DWORD dst_unused:UNUSED_PAD src0_sel:DWORD src1_sel:WORD_1
	v_lshrrev_b32_e32 v30, 16, v18
	v_fma_f16 v15, v15, v27, -v37
	v_fma_f16 v20, v20, v27, v25
	v_fma_f16 v23, v11, v28, -v23
	v_fma_f16 v25, v16, v28, v26
	v_add_f16_e32 v11, v7, v19
	v_add_f16_e32 v16, v7, v9
	;; [unrolled: 1-line block ×4, first 2 shown]
	v_sub_f16_e32 v7, v7, v9
	v_sub_f16_e32 v26, v33, v36
	v_add_f16_e32 v9, v11, v9
	v_add_f16_e32 v11, v30, v8
	v_fma_f16 v16, v16, -0.5, v19
	v_add_f16_e32 v27, v27, v36
	v_fma_f16 v17, v28, -0.5, v17
	v_sub_f16_e32 v37, v8, v10
	v_add_f16_e32 v8, v8, v10
	v_add_f16_e32 v10, v11, v10
	v_pack_b32_f16 v9, v9, v27
	v_fma_f16 v11, v26, s2, v16
	v_fma_f16 v27, v7, s3, v17
	;; [unrolled: 1-line block ×4, first 2 shown]
	v_add_f16_e32 v19, v15, v23
	v_pack_b32_f16 v11, v11, v27
	v_pack_b32_f16 v7, v16, v7
	ds_write2_b32 v24, v9, v11 offset1:3
	ds_write_b32 v24, v7 offset:24
	v_fma_f16 v7, v19, -0.5, v5
	v_sub_f16_e32 v9, v20, v25
	v_fma_f16 v17, v9, s2, v7
	v_fma_f16 v11, v9, s3, v7
	v_lshrrev_b32_e32 v7, 16, v5
	v_add_f16_e32 v9, v7, v20
	v_add_f16_e32 v35, v29, v34
	;; [unrolled: 1-line block ×5, first 2 shown]
	v_sub_f16_e32 v29, v29, v34
	v_fma_f16 v18, v35, -0.5, v18
	v_fma_f16 v8, v8, -0.5, v30
	;; [unrolled: 1-line block ×3, first 2 shown]
	v_sub_f16_e32 v9, v15, v23
	v_add_f16_e32 v28, v33, v34
	v_fma_f16 v26, v37, s2, v18
	v_fma_f16 v30, v37, s3, v18
	v_fma_f16 v33, v29, s3, v8
	v_fma_f16 v8, v29, s2, v8
	v_add_f16_e32 v5, v5, v15
	v_fma_f16 v18, v9, s3, v7
	v_fma_f16 v19, v9, s2, v7
	v_mul_u32_u24_e32 v7, 36, v31
	v_lshlrev_b32_e32 v9, 2, v32
	v_add_f16_e32 v5, v5, v23
	v_add3_u32 v7, 0, v7, v9
	v_pack_b32_f16 v9, v28, v10
	v_pack_b32_f16 v10, v26, v33
	;; [unrolled: 1-line block ×3, first 2 shown]
	ds_write2_b32 v7, v9, v10 offset1:3
	ds_write_b32 v7, v8 offset:24
	s_and_saveexec_b64 s[2:3], vcc
	s_cbranch_execz .LBB0_19
; %bb.18:
	v_mul_lo_u16_e32 v7, 9, v21
	v_lshlrev_b32_e32 v8, 2, v22
	v_lshlrev_b32_e32 v7, 2, v7
	s_mov_b32 s4, 0x5040100
	v_add3_u32 v7, 0, v8, v7
	v_perm_b32 v8, v16, v5, s4
	v_perm_b32 v9, v18, v17, s4
	ds_write2_b32 v7, v8, v9 offset1:3
	v_perm_b32 v8, v19, v11, s4
	ds_write_b32 v7, v8 offset:24
.LBB0_19:
	s_or_b64 exec, exec, s[2:3]
	v_add_u32_e32 v7, 0xa00, v13
	v_add_u32_e32 v9, 0x1440, v13
	s_waitcnt lgkmcnt(0)
	s_barrier
	ds_read2_b32 v[7:8], v7 offset0:8 offset1:251
	ds_read2_b32 v[9:10], v9 offset1:243
	v_add_u32_e32 v15, v1, v12
	ds_read_b32 v12, v13
	ds_read_b32 v1, v15
	s_and_saveexec_b64 s[2:3], vcc
	s_cbranch_execz .LBB0_21
; %bb.20:
	ds_read_b32 v5, v14
	ds_read_b32 v17, v13 offset:4536
	ds_read_b32 v11, v13 offset:7128
	s_waitcnt lgkmcnt(2)
	v_lshrrev_b32_e32 v16, 16, v5
	s_waitcnt lgkmcnt(1)
	v_lshrrev_b32_e32 v18, 16, v17
	;; [unrolled: 2-line block ×3, first 2 shown]
.LBB0_21:
	s_or_b64 exec, exec, s[2:3]
	v_mov_b32_e32 v20, 57
	v_mul_lo_u16_sdwa v20, v0, v20 dst_sel:DWORD dst_unused:UNUSED_PAD src0_sel:BYTE_0 src1_sel:DWORD
	v_lshrrev_b16_e32 v28, 9, v20
	v_mul_lo_u16_e32 v20, 9, v28
	v_sub_u16_e32 v29, v0, v20
	v_mov_b32_e32 v20, 3
	v_lshlrev_b32_sdwa v20, v20, v29 dst_sel:DWORD dst_unused:UNUSED_PAD src0_sel:DWORD src1_sel:BYTE_0
	s_mov_b32 s2, 0xe38f
	global_load_dwordx2 v[22:23], v20, s[8:9] offset:24
	v_mul_u32_u24_sdwa v20, v4, s2 dst_sel:DWORD dst_unused:UNUSED_PAD src0_sel:WORD_0 src1_sel:DWORD
	v_lshrrev_b32_e32 v30, 19, v20
	v_mul_lo_u16_e32 v20, 9, v30
	v_sub_u16_e32 v31, v4, v20
	v_lshlrev_b32_e32 v20, 3, v31
	global_load_dwordx2 v[24:25], v20, s[8:9] offset:24
	v_mul_u32_u24_sdwa v20, v6, s2 dst_sel:DWORD dst_unused:UNUSED_PAD src0_sel:WORD_0 src1_sel:DWORD
	v_lshrrev_b32_e32 v20, 19, v20
	v_mul_lo_u16_e32 v21, 9, v20
	v_sub_u16_e32 v21, v6, v21
	v_lshlrev_b32_e32 v26, 3, v21
	global_load_dwordx2 v[26:27], v26, s[8:9] offset:24
	s_waitcnt lgkmcnt(3)
	v_lshrrev_b32_e32 v33, 16, v7
	s_waitcnt lgkmcnt(2)
	v_lshrrev_b32_e32 v34, 16, v9
	v_lshrrev_b32_e32 v35, 16, v8
	s_waitcnt lgkmcnt(0)
	v_lshrrev_b32_e32 v32, 16, v1
	s_movk_i32 s2, 0x3aee
	s_mov_b32 s3, 0xbaee
	s_waitcnt vmcnt(0)
	s_barrier
	v_mul_f16_sdwa v37, v22, v7 dst_sel:DWORD dst_unused:UNUSED_PAD src0_sel:WORD_1 src1_sel:DWORD
	v_mul_f16_sdwa v36, v22, v33 dst_sel:DWORD dst_unused:UNUSED_PAD src0_sel:WORD_1 src1_sel:DWORD
	v_fma_f16 v33, v22, v33, v37
	v_mul_f16_sdwa v37, v23, v9 dst_sel:DWORD dst_unused:UNUSED_PAD src0_sel:WORD_1 src1_sel:DWORD
	v_fma_f16 v37, v23, v34, v37
	v_mul_f16_sdwa v34, v23, v34 dst_sel:DWORD dst_unused:UNUSED_PAD src0_sel:WORD_1 src1_sel:DWORD
	v_fma_f16 v7, v22, v7, -v36
	v_lshrrev_b32_e32 v22, 16, v10
	v_fma_f16 v9, v23, v9, -v34
	v_mul_f16_sdwa v23, v24, v35 dst_sel:DWORD dst_unused:UNUSED_PAD src0_sel:WORD_1 src1_sel:DWORD
	v_mul_f16_sdwa v34, v25, v22 dst_sel:DWORD dst_unused:UNUSED_PAD src0_sel:WORD_1 src1_sel:DWORD
	v_fma_f16 v23, v24, v8, -v23
	v_mul_f16_sdwa v8, v24, v8 dst_sel:DWORD dst_unused:UNUSED_PAD src0_sel:WORD_1 src1_sel:DWORD
	v_fma_f16 v34, v25, v10, -v34
	v_mul_f16_sdwa v10, v25, v10 dst_sel:DWORD dst_unused:UNUSED_PAD src0_sel:WORD_1 src1_sel:DWORD
	v_lshrrev_b32_e32 v36, 16, v12
	v_fma_f16 v8, v24, v35, v8
	v_mul_f16_sdwa v24, v18, v26 dst_sel:DWORD dst_unused:UNUSED_PAD src0_sel:DWORD src1_sel:WORD_1
	v_fma_f16 v10, v25, v22, v10
	v_mul_f16_sdwa v22, v17, v26 dst_sel:DWORD dst_unused:UNUSED_PAD src0_sel:DWORD src1_sel:WORD_1
	v_mul_f16_sdwa v25, v19, v27 dst_sel:DWORD dst_unused:UNUSED_PAD src0_sel:DWORD src1_sel:WORD_1
	;; [unrolled: 1-line block ×3, first 2 shown]
	v_fma_f16 v17, v17, v26, -v24
	v_fma_f16 v18, v18, v26, v22
	v_fma_f16 v22, v11, v27, -v25
	v_fma_f16 v19, v19, v27, v35
	v_add_f16_e32 v11, v7, v12
	v_add_f16_e32 v24, v7, v9
	v_sub_f16_e32 v25, v33, v37
	v_add_f16_e32 v26, v33, v36
	v_add_f16_e32 v27, v33, v37
	v_add_f16_e32 v33, v1, v23
	v_add_f16_e32 v35, v23, v34
	v_sub_f16_e32 v7, v7, v9
	v_add_f16_e32 v9, v11, v9
	v_fma_f16 v24, v24, -0.5, v12
	v_add_f16_e32 v11, v32, v8
	v_sub_f16_e32 v23, v23, v34
	v_add_f16_e32 v12, v5, v17
	v_add_f16_e32 v33, v33, v34
	v_sub_f16_e32 v34, v18, v19
	v_fma_f16 v1, v35, -0.5, v1
	v_add_f16_e32 v35, v16, v18
	v_add_f16_e32 v18, v18, v19
	v_sub_f16_e32 v38, v8, v10
	v_add_f16_e32 v8, v8, v10
	v_fma_f16 v27, v27, -0.5, v36
	v_add_f16_e32 v36, v17, v22
	v_add_f16_e32 v10, v11, v10
	;; [unrolled: 1-line block ×3, first 2 shown]
	v_fma_f16 v18, v18, -0.5, v16
	v_sub_f16_e32 v17, v17, v22
	v_mov_b32_e32 v22, 2
	v_add_f16_e32 v26, v26, v37
	v_add_f16_e32 v12, v35, v19
	v_fma_f16 v19, v25, s2, v24
	v_fma_f16 v24, v25, s3, v24
	;; [unrolled: 1-line block ×6, first 2 shown]
	v_mul_u32_u24_e32 v18, 0x6c, v28
	v_lshlrev_b32_sdwa v22, v22, v29 dst_sel:DWORD dst_unused:UNUSED_PAD src0_sel:DWORD src1_sel:BYTE_0
	v_fma_f16 v8, v8, -0.5, v32
	v_add3_u32 v18, 0, v18, v22
	v_pack_b32_f16 v9, v9, v26
	v_pack_b32_f16 v19, v19, v25
	v_pack_b32_f16 v7, v24, v7
	v_fma_f16 v32, v36, -0.5, v5
	v_fma_f16 v27, v38, s2, v1
	v_fma_f16 v35, v38, s3, v1
	;; [unrolled: 1-line block ×4, first 2 shown]
	ds_write2_b32 v18, v9, v19 offset1:9
	ds_write_b32 v18, v7 offset:72
	v_mul_u32_u24_e32 v7, 0x6c, v30
	v_lshlrev_b32_e32 v9, 2, v31
	v_fma_f16 v5, v34, s2, v32
	v_fma_f16 v1, v34, s3, v32
	v_add3_u32 v7, 0, v7, v9
	v_pack_b32_f16 v9, v33, v10
	v_pack_b32_f16 v10, v27, v36
	;; [unrolled: 1-line block ×3, first 2 shown]
	ds_write2_b32 v7, v9, v10 offset1:9
	ds_write_b32 v7, v8 offset:72
	s_and_saveexec_b64 s[2:3], vcc
	s_cbranch_execz .LBB0_23
; %bb.22:
	v_mul_lo_u16_e32 v7, 27, v20
	v_lshlrev_b32_e32 v8, 2, v21
	v_lshlrev_b32_e32 v7, 2, v7
	s_mov_b32 s4, 0x5040100
	v_add3_u32 v7, 0, v8, v7
	v_perm_b32 v8, v12, v11, s4
	v_perm_b32 v9, v16, v5, s4
	ds_write2_b32 v7, v8, v9 offset1:9
	v_perm_b32 v8, v17, v1, s4
	ds_write_b32 v7, v8 offset:72
.LBB0_23:
	s_or_b64 exec, exec, s[2:3]
	v_add_u32_e32 v7, 0xa00, v13
	v_add_u32_e32 v9, 0x1440, v13
	s_waitcnt lgkmcnt(0)
	s_barrier
	ds_read2_b32 v[7:8], v7 offset0:8 offset1:251
	ds_read2_b32 v[9:10], v9 offset1:243
	ds_read_b32 v19, v13
	ds_read_b32 v18, v15
	s_and_saveexec_b64 s[2:3], vcc
	s_cbranch_execz .LBB0_25
; %bb.24:
	ds_read_b32 v11, v14
	ds_read_b32 v5, v13 offset:4536
	ds_read_b32 v1, v13 offset:7128
	s_waitcnt lgkmcnt(2)
	v_lshrrev_b32_e32 v12, 16, v11
	s_waitcnt lgkmcnt(1)
	v_lshrrev_b32_e32 v16, 16, v5
	;; [unrolled: 2-line block ×3, first 2 shown]
.LBB0_25:
	s_or_b64 exec, exec, s[2:3]
	v_mov_b32_e32 v20, 19
	v_mul_lo_u16_sdwa v20, v0, v20 dst_sel:DWORD dst_unused:UNUSED_PAD src0_sel:BYTE_0 src1_sel:DWORD
	v_lshrrev_b16_e32 v28, 9, v20
	v_mul_lo_u16_e32 v20, 27, v28
	v_sub_u16_e32 v29, v0, v20
	v_mov_b32_e32 v20, 3
	v_lshlrev_b32_sdwa v20, v20, v29 dst_sel:DWORD dst_unused:UNUSED_PAD src0_sel:DWORD src1_sel:BYTE_0
	s_movk_i32 s2, 0x2f69
	global_load_dwordx2 v[22:23], v20, s[8:9] offset:96
	v_mul_u32_u24_sdwa v20, v4, s2 dst_sel:DWORD dst_unused:UNUSED_PAD src0_sel:WORD_0 src1_sel:DWORD
	v_sub_u16_sdwa v21, v4, v20 dst_sel:DWORD dst_unused:UNUSED_PAD src0_sel:DWORD src1_sel:WORD_1
	v_lshrrev_b16_e32 v21, 1, v21
	v_add_u16_sdwa v20, v21, v20 dst_sel:DWORD dst_unused:UNUSED_PAD src0_sel:DWORD src1_sel:WORD_1
	v_lshrrev_b16_e32 v30, 4, v20
	v_mul_lo_u16_e32 v20, 27, v30
	v_sub_u16_e32 v31, v4, v20
	v_lshlrev_b32_e32 v20, 3, v31
	global_load_dwordx2 v[24:25], v20, s[8:9] offset:96
	v_mul_u32_u24_sdwa v20, v6, s2 dst_sel:DWORD dst_unused:UNUSED_PAD src0_sel:WORD_0 src1_sel:DWORD
	v_sub_u16_sdwa v21, v6, v20 dst_sel:DWORD dst_unused:UNUSED_PAD src0_sel:DWORD src1_sel:WORD_1
	v_lshrrev_b16_e32 v21, 1, v21
	v_add_u16_sdwa v20, v21, v20 dst_sel:DWORD dst_unused:UNUSED_PAD src0_sel:DWORD src1_sel:WORD_1
	v_lshrrev_b16_e32 v20, 4, v20
	v_mul_lo_u16_e32 v21, 27, v20
	v_sub_u16_e32 v21, v6, v21
	v_lshlrev_b32_e32 v26, 3, v21
	global_load_dwordx2 v[26:27], v26, s[8:9] offset:96
	s_waitcnt lgkmcnt(3)
	v_lshrrev_b32_e32 v33, 16, v7
	s_waitcnt lgkmcnt(2)
	v_lshrrev_b32_e32 v34, 16, v9
	v_lshrrev_b32_e32 v35, 16, v8
	s_waitcnt lgkmcnt(0)
	v_lshrrev_b32_e32 v32, 16, v18
	s_movk_i32 s2, 0x3aee
	s_mov_b32 s3, 0xbaee
	s_waitcnt vmcnt(0)
	s_barrier
	v_mul_f16_sdwa v37, v22, v7 dst_sel:DWORD dst_unused:UNUSED_PAD src0_sel:WORD_1 src1_sel:DWORD
	v_mul_f16_sdwa v36, v22, v33 dst_sel:DWORD dst_unused:UNUSED_PAD src0_sel:WORD_1 src1_sel:DWORD
	v_fma_f16 v33, v22, v33, v37
	v_mul_f16_sdwa v37, v23, v9 dst_sel:DWORD dst_unused:UNUSED_PAD src0_sel:WORD_1 src1_sel:DWORD
	v_fma_f16 v37, v23, v34, v37
	v_mul_f16_sdwa v34, v23, v34 dst_sel:DWORD dst_unused:UNUSED_PAD src0_sel:WORD_1 src1_sel:DWORD
	v_fma_f16 v7, v22, v7, -v36
	v_fma_f16 v9, v23, v9, -v34
	v_lshrrev_b32_e32 v22, 16, v10
	v_mul_f16_sdwa v23, v24, v35 dst_sel:DWORD dst_unused:UNUSED_PAD src0_sel:WORD_1 src1_sel:DWORD
	v_fma_f16 v23, v24, v8, -v23
	v_mul_f16_sdwa v8, v24, v8 dst_sel:DWORD dst_unused:UNUSED_PAD src0_sel:WORD_1 src1_sel:DWORD
	v_mul_f16_sdwa v34, v25, v22 dst_sel:DWORD dst_unused:UNUSED_PAD src0_sel:WORD_1 src1_sel:DWORD
	v_lshrrev_b32_e32 v36, 16, v19
	v_fma_f16 v34, v25, v10, -v34
	v_mul_f16_sdwa v10, v25, v10 dst_sel:DWORD dst_unused:UNUSED_PAD src0_sel:WORD_1 src1_sel:DWORD
	v_fma_f16 v24, v24, v35, v8
	v_add_f16_e32 v8, v7, v19
	v_add_f16_e32 v35, v33, v36
	v_fma_f16 v22, v25, v22, v10
	v_add_f16_e32 v10, v7, v9
	v_sub_f16_e32 v25, v33, v37
	v_add_f16_e32 v33, v33, v37
	v_sub_f16_e32 v7, v7, v9
	v_add_f16_e32 v38, v8, v9
	v_mul_f16_sdwa v8, v16, v26 dst_sel:DWORD dst_unused:UNUSED_PAD src0_sel:DWORD src1_sel:WORD_1
	v_mul_f16_sdwa v9, v5, v26 dst_sel:DWORD dst_unused:UNUSED_PAD src0_sel:DWORD src1_sel:WORD_1
	v_add_f16_e32 v35, v35, v37
	v_mul_f16_sdwa v37, v17, v27 dst_sel:DWORD dst_unused:UNUSED_PAD src0_sel:DWORD src1_sel:WORD_1
	v_fma_f16 v19, v10, -0.5, v19
	v_fma_f16 v33, v33, -0.5, v36
	v_mul_f16_sdwa v36, v1, v27 dst_sel:DWORD dst_unused:UNUSED_PAD src0_sel:DWORD src1_sel:WORD_1
	v_fma_f16 v8, v5, v26, -v8
	v_fma_f16 v10, v16, v26, v9
	v_fma_f16 v9, v1, v27, -v37
	v_add_f16_e32 v5, v23, v34
	v_fma_f16 v16, v17, v27, v36
	v_fma_f16 v26, v25, s2, v19
	;; [unrolled: 1-line block ×5, first 2 shown]
	v_sub_f16_e32 v7, v24, v22
	v_add_f16_e32 v19, v32, v24
	v_add_f16_e32 v24, v24, v22
	;; [unrolled: 1-line block ×3, first 2 shown]
	v_fma_f16 v5, v5, -0.5, v18
	v_add_f16_e32 v1, v18, v23
	v_sub_f16_e32 v23, v23, v34
	v_add_f16_e32 v37, v19, v22
	v_fma_f16 v24, v24, -0.5, v32
	v_fma_f16 v19, v36, -0.5, v11
	v_fma_f16 v32, v7, s2, v5
	v_fma_f16 v36, v7, s3, v5
	v_mov_b32_e32 v7, 2
	v_fma_f16 v39, v23, s3, v24
	v_fma_f16 v23, v23, s2, v24
	v_mul_u32_u24_e32 v5, 0x144, v28
	v_lshlrev_b32_sdwa v24, v7, v29 dst_sel:DWORD dst_unused:UNUSED_PAD src0_sel:DWORD src1_sel:BYTE_0
	v_add_f16_e32 v34, v1, v34
	v_add_f16_e32 v1, v10, v16
	v_add3_u32 v24, 0, v5, v24
	v_pack_b32_f16 v28, v38, v35
	v_pack_b32_f16 v26, v26, v27
	;; [unrolled: 1-line block ×3, first 2 shown]
	v_sub_f16_e32 v17, v10, v16
	v_sub_f16_e32 v18, v8, v9
	v_fma_f16 v22, v1, -0.5, v12
	ds_write2_b32 v24, v28, v26 offset1:27
	ds_write_b32 v24, v25 offset:216
	v_mul_u32_u24_e32 v24, 0x144, v30
	v_lshlrev_b32_e32 v25, 2, v31
	v_fma_f16 v1, v17, s3, v19
	v_fma_f16 v5, v18, s2, v22
	v_add3_u32 v24, 0, v24, v25
	v_pack_b32_f16 v25, v34, v37
	v_pack_b32_f16 v26, v32, v39
	;; [unrolled: 1-line block ×3, first 2 shown]
	ds_write2_b32 v24, v25, v26 offset1:27
	ds_write_b32 v24, v23 offset:216
	s_and_saveexec_b64 s[2:3], vcc
	s_cbranch_execz .LBB0_27
; %bb.26:
	v_add_f16_e32 v8, v11, v8
	v_mul_f16_e32 v17, 0x3aee, v17
	v_mul_f16_e32 v18, 0x3aee, v18
	v_add_f16_e32 v10, v12, v10
	v_add_f16_e32 v8, v8, v9
	v_mul_lo_u16_e32 v9, 0x51, v20
	v_sub_f16_e32 v18, v22, v18
	v_add_f16_e32 v17, v17, v19
	v_add_f16_e32 v10, v10, v16
	v_lshlrev_b32_e32 v11, 2, v21
	v_lshlrev_b32_e32 v9, 2, v9
	v_add3_u32 v9, 0, v11, v9
	v_pack_b32_f16 v8, v8, v10
	v_pack_b32_f16 v10, v17, v18
	s_mov_b32 s4, 0x5040100
	ds_write2_b32 v9, v8, v10 offset1:27
	v_perm_b32 v8, v5, v1, s4
	ds_write_b32 v9, v8 offset:216
.LBB0_27:
	s_or_b64 exec, exec, s[2:3]
	s_movk_i32 s2, 0xcb
	v_mul_lo_u16_sdwa v8, v0, s2 dst_sel:DWORD dst_unused:UNUSED_PAD src0_sel:BYTE_0 src1_sel:DWORD
	v_lshrrev_b16_e32 v12, 14, v8
	v_mul_lo_u16_e32 v8, 0x51, v12
	v_sub_u16_e32 v23, v0, v8
	v_mov_b32_e32 v8, 7
	v_mul_u32_u24_sdwa v8, v23, v8 dst_sel:DWORD dst_unused:UNUSED_PAD src0_sel:BYTE_0 src1_sel:DWORD
	v_lshlrev_b32_e32 v19, 2, v8
	s_waitcnt lgkmcnt(0)
	s_barrier
	global_load_dwordx4 v[8:11], v19, s[8:9] offset:312
	global_load_dwordx3 v[16:18], v19, s[8:9] offset:328
	v_add_u32_e32 v19, 0xb40, v13
	v_add_u32_e32 v21, 0x12e0, v13
	ds_read_b32 v24, v15
	ds_read_b32 v25, v14
	ds_read_b32 v26, v13 offset:6804
	ds_read_u16 v27, v13 offset:5834
	ds_read_b32 v28, v13
	ds_read2_b32 v[19:20], v19 offset0:9 offset1:252
	ds_read2_b32 v[21:22], v21 offset0:7 offset1:250
	s_waitcnt lgkmcnt(6)
	v_lshrrev_b32_e32 v29, 16, v24
	s_waitcnt lgkmcnt(5)
	v_lshrrev_b32_e32 v30, 16, v25
	;; [unrolled: 2-line block ×4, first 2 shown]
	v_lshrrev_b32_e32 v34, 16, v20
	s_waitcnt lgkmcnt(0)
	v_lshrrev_b32_e32 v35, 16, v21
	v_lshrrev_b32_e32 v32, 16, v28
	s_mov_b32 s2, 0xb9a8
	s_movk_i32 s3, 0x39a8
	v_mul_u32_u24_e32 v12, 0xa20, v12
	v_lshlrev_b32_sdwa v7, v7, v23 dst_sel:DWORD dst_unused:UNUSED_PAD src0_sel:DWORD src1_sel:BYTE_0
	v_add3_u32 v7, 0, v12, v7
	s_waitcnt vmcnt(0)
	s_barrier
	v_mul_f16_sdwa v36, v10, v33 dst_sel:DWORD dst_unused:UNUSED_PAD src0_sel:WORD_1 src1_sel:DWORD
	v_mul_f16_sdwa v38, v11, v34 dst_sel:DWORD dst_unused:UNUSED_PAD src0_sel:WORD_1 src1_sel:DWORD
	;; [unrolled: 1-line block ×5, first 2 shown]
	v_fma_f16 v19, v10, v19, -v36
	v_fma_f16 v20, v11, v20, -v38
	v_mul_f16_sdwa v36, v8, v24 dst_sel:DWORD dst_unused:UNUSED_PAD src0_sel:WORD_1 src1_sel:DWORD
	v_mul_f16_sdwa v38, v9, v30 dst_sel:DWORD dst_unused:UNUSED_PAD src0_sel:WORD_1 src1_sel:DWORD
	v_fma_f16 v24, v8, v24, -v40
	v_mul_f16_sdwa v40, v9, v25 dst_sel:DWORD dst_unused:UNUSED_PAD src0_sel:WORD_1 src1_sel:DWORD
	v_fma_f16 v8, v8, v29, v36
	v_mul_f16_sdwa v29, v16, v35 dst_sel:DWORD dst_unused:UNUSED_PAD src0_sel:WORD_1 src1_sel:DWORD
	v_fma_f16 v25, v9, v25, -v38
	v_fma_f16 v9, v9, v30, v40
	v_mul_f16_sdwa v30, v27, v17 dst_sel:DWORD dst_unused:UNUSED_PAD src0_sel:DWORD src1_sel:WORD_1
	v_fma_f16 v10, v10, v33, v37
	v_mul_f16_sdwa v33, v17, v22 dst_sel:DWORD dst_unused:UNUSED_PAD src0_sel:WORD_1 src1_sel:DWORD
	v_fma_f16 v11, v11, v34, v39
	v_mul_f16_sdwa v34, v31, v18 dst_sel:DWORD dst_unused:UNUSED_PAD src0_sel:DWORD src1_sel:WORD_1
	v_mul_f16_sdwa v37, v26, v18 dst_sel:DWORD dst_unused:UNUSED_PAD src0_sel:DWORD src1_sel:WORD_1
	v_mul_f16_sdwa v36, v16, v21 dst_sel:DWORD dst_unused:UNUSED_PAD src0_sel:WORD_1 src1_sel:DWORD
	v_fma_f16 v21, v16, v21, -v29
	v_fma_f16 v22, v17, v22, -v30
	v_fma_f16 v17, v27, v17, v33
	v_fma_f16 v26, v26, v18, -v34
	v_fma_f16 v18, v31, v18, v37
	v_fma_f16 v16, v16, v35, v36
	v_sub_f16_e32 v20, v28, v20
	v_sub_f16_e32 v22, v25, v22
	;; [unrolled: 1-line block ×8, first 2 shown]
	v_fma_f16 v27, v28, 2.0, -v20
	v_fma_f16 v25, v25, 2.0, -v22
	v_sub_f16_e32 v29, v20, v17
	v_sub_f16_e32 v30, v21, v18
	v_fma_f16 v28, v32, 2.0, -v11
	v_fma_f16 v9, v9, 2.0, -v17
	v_fma_f16 v8, v8, 2.0, -v16
	v_fma_f16 v10, v10, 2.0, -v18
	v_add_f16_e32 v22, v11, v22
	v_add_f16_e32 v18, v16, v26
	v_sub_f16_e32 v25, v27, v25
	v_fma_f16 v17, v20, 2.0, -v29
	v_fma_f16 v20, v21, 2.0, -v30
	;; [unrolled: 1-line block ×4, first 2 shown]
	v_sub_f16_e32 v9, v28, v9
	v_fma_f16 v11, v11, 2.0, -v22
	v_sub_f16_e32 v10, v8, v10
	v_fma_f16 v16, v16, 2.0, -v18
	v_fma_f16 v21, v27, 2.0, -v25
	v_fma_f16 v27, v20, s2, v17
	v_sub_f16_e32 v19, v24, v19
	v_fma_f16 v26, v28, 2.0, -v9
	v_fma_f16 v28, v16, s2, v11
	v_fma_f16 v27, v16, s2, v27
	v_sub_f16_e32 v16, v25, v10
	v_fma_f16 v24, v24, 2.0, -v19
	v_fma_f16 v8, v8, 2.0, -v10
	v_fma_f16 v20, v20, s3, v28
	v_fma_f16 v28, v17, 2.0, -v27
	v_add_f16_e32 v17, v9, v19
	v_fma_f16 v10, v25, 2.0, -v16
	v_fma_f16 v19, v30, s3, v29
	v_fma_f16 v25, v18, s3, v22
	;; [unrolled: 1-line block ×4, first 2 shown]
	v_sub_f16_e32 v24, v21, v24
	v_sub_f16_e32 v8, v26, v8
	v_fma_f16 v9, v9, 2.0, -v17
	v_fma_f16 v25, v29, 2.0, -v18
	;; [unrolled: 1-line block ×6, first 2 shown]
	v_pack_b32_f16 v9, v10, v9
	v_pack_b32_f16 v10, v25, v22
	;; [unrolled: 1-line block ×4, first 2 shown]
	ds_write2_b32 v7, v9, v10 offset0:162 offset1:243
	v_pack_b32_f16 v8, v24, v8
	v_pack_b32_f16 v9, v27, v20
	v_add_u32_e32 v10, 0x400, v7
	ds_write2_b32 v7, v12, v11 offset1:81
	ds_write2_b32 v10, v8, v9 offset0:68 offset1:149
	v_pack_b32_f16 v8, v16, v17
	v_pack_b32_f16 v9, v18, v19
	v_add_u32_e32 v7, 0x600, v7
	ds_write2_b32 v7, v8, v9 offset0:102 offset1:183
	v_add_u32_e32 v7, 0xa00, v13
	s_waitcnt lgkmcnt(0)
	s_barrier
	ds_read2_b32 v[9:10], v7 offset0:8 offset1:251
	v_add_u32_e32 v7, 0x1440, v13
	ds_read2_b32 v[11:12], v7 offset1:243
	ds_read_b32 v21, v13
	ds_read_b32 v20, v15
	s_and_saveexec_b64 s[2:3], vcc
	s_cbranch_execz .LBB0_29
; %bb.28:
	ds_read_b32 v16, v14
	ds_read_b32 v18, v13 offset:4536
	ds_read_b32 v1, v13 offset:7128
	s_waitcnt lgkmcnt(2)
	v_lshrrev_b32_e32 v17, 16, v16
	s_waitcnt lgkmcnt(1)
	v_lshrrev_b32_e32 v19, 16, v18
	;; [unrolled: 2-line block ×3, first 2 shown]
.LBB0_29:
	s_or_b64 exec, exec, s[2:3]
	v_lshlrev_b32_e32 v7, 1, v0
	v_mov_b32_e32 v8, 0
	v_lshlrev_b64 v[22:23], 2, v[7:8]
	v_lshlrev_b32_e32 v7, 1, v4
	v_mov_b32_e32 v26, s9
	v_add_co_u32_e64 v22, s[2:3], s8, v22
	v_lshlrev_b64 v[24:25], 2, v[7:8]
	v_addc_co_u32_e64 v23, s[2:3], v26, v23, s[2:3]
	v_add_co_u32_e64 v24, s[2:3], s8, v24
	global_load_dwordx2 v[22:23], v[22:23], off offset:2580
	v_addc_co_u32_e64 v25, s[2:3], v26, v25, s[2:3]
	global_load_dwordx2 v[24:25], v[24:25], off offset:2580
	s_waitcnt lgkmcnt(2)
	v_lshrrev_b32_e32 v29, 16, v11
	v_lshrrev_b32_e32 v30, 16, v9
	;; [unrolled: 1-line block ×4, first 2 shown]
	s_waitcnt lgkmcnt(1)
	v_lshrrev_b32_e32 v26, 16, v21
	s_waitcnt lgkmcnt(0)
	v_lshrrev_b32_e32 v7, 16, v20
	s_movk_i32 s4, 0x3aee
	s_mov_b32 s5, 0xbaee
	s_waitcnt vmcnt(0)
	s_barrier
	v_mul_f16_sdwa v31, v22, v30 dst_sel:DWORD dst_unused:UNUSED_PAD src0_sel:WORD_1 src1_sel:DWORD
	v_mul_f16_sdwa v32, v22, v9 dst_sel:DWORD dst_unused:UNUSED_PAD src0_sel:WORD_1 src1_sel:DWORD
	;; [unrolled: 1-line block ×4, first 2 shown]
	v_fma_f16 v9, v22, v9, -v31
	v_fma_f16 v22, v22, v30, v32
	v_fma_f16 v11, v23, v11, -v33
	v_fma_f16 v23, v23, v29, v34
	v_mul_f16_sdwa v29, v24, v28 dst_sel:DWORD dst_unused:UNUSED_PAD src0_sel:WORD_1 src1_sel:DWORD
	v_mul_f16_sdwa v30, v24, v10 dst_sel:DWORD dst_unused:UNUSED_PAD src0_sel:WORD_1 src1_sel:DWORD
	;; [unrolled: 1-line block ×4, first 2 shown]
	v_fma_f16 v10, v24, v10, -v29
	v_fma_f16 v24, v24, v28, v30
	v_fma_f16 v12, v25, v12, -v31
	v_fma_f16 v25, v25, v27, v32
	v_add_f16_e32 v27, v9, v21
	v_add_f16_e32 v28, v9, v11
	v_sub_f16_e32 v29, v22, v23
	v_add_f16_e32 v30, v22, v26
	v_add_f16_e32 v22, v22, v23
	v_sub_f16_e32 v9, v9, v11
	v_add_f16_e32 v11, v27, v11
	v_fma_f16 v21, v28, -0.5, v21
	v_add_f16_e32 v23, v30, v23
	v_fma_f16 v22, v22, -0.5, v26
	v_add_f16_e32 v27, v10, v12
	v_sub_f16_e32 v28, v24, v25
	v_add_f16_e32 v30, v7, v24
	v_add_f16_e32 v24, v24, v25
	v_add_f16_e32 v26, v20, v10
	v_sub_f16_e32 v10, v10, v12
	v_fma_f16 v31, v29, s4, v21
	v_fma_f16 v21, v29, s5, v21
	;; [unrolled: 1-line block ×4, first 2 shown]
	v_fma_f16 v20, v27, -0.5, v20
	v_fma_f16 v7, v24, -0.5, v7
	v_add_f16_e32 v12, v26, v12
	v_add_f16_e32 v22, v30, v25
	v_pack_b32_f16 v11, v11, v23
	v_fma_f16 v23, v28, s4, v20
	v_fma_f16 v24, v10, s5, v7
	;; [unrolled: 1-line block ×3, first 2 shown]
	v_pack_b32_f16 v10, v31, v29
	v_pack_b32_f16 v9, v21, v9
	v_fma_f16 v20, v28, s5, v20
	ds_write_b32 v13, v11
	v_pack_b32_f16 v11, v12, v22
	ds_write_b32 v13, v10 offset:2592
	ds_write_b32 v13, v9 offset:5184
	ds_write_b32 v15, v11
	v_pack_b32_f16 v9, v23, v24
	v_pack_b32_f16 v7, v20, v7
	ds_write_b32 v15, v9 offset:2592
	ds_write_b32 v15, v7 offset:5184
	s_and_saveexec_b64 s[2:3], vcc
	s_cbranch_execz .LBB0_31
; %bb.30:
	v_add_u32_e32 v7, 0xffffff5e, v0
	v_cndmask_b32_e32 v7, v7, v6, vcc
	v_lshlrev_b32_e32 v7, 1, v7
	v_lshlrev_b64 v[7:8], 2, v[7:8]
	v_mov_b32_e32 v9, s9
	v_add_co_u32_e32 v7, vcc, s8, v7
	v_addc_co_u32_e32 v8, vcc, v9, v8, vcc
	global_load_dwordx2 v[7:8], v[7:8], off offset:2580
	s_waitcnt vmcnt(0)
	v_mul_f16_sdwa v9, v18, v7 dst_sel:DWORD dst_unused:UNUSED_PAD src0_sel:DWORD src1_sel:WORD_1
	v_mul_f16_sdwa v10, v1, v8 dst_sel:DWORD dst_unused:UNUSED_PAD src0_sel:DWORD src1_sel:WORD_1
	;; [unrolled: 1-line block ×4, first 2 shown]
	v_fma_f16 v9, v19, v7, v9
	v_fma_f16 v5, v5, v8, v10
	v_fma_f16 v7, v18, v7, -v11
	v_fma_f16 v1, v1, v8, -v12
	v_add_f16_e32 v8, v9, v5
	v_sub_f16_e32 v10, v7, v1
	v_add_f16_e32 v11, v7, v1
	v_sub_f16_e32 v12, v9, v5
	v_add_f16_e32 v9, v17, v9
	v_add_f16_e32 v7, v16, v7
	v_fma_f16 v8, v8, -0.5, v17
	v_fma_f16 v11, v11, -0.5, v16
	v_add_f16_e32 v5, v9, v5
	v_add_f16_e32 v1, v7, v1
	v_fma_f16 v7, v10, s5, v8
	v_fma_f16 v9, v12, s4, v11
	v_pack_b32_f16 v1, v1, v5
	v_fma_f16 v8, v10, s4, v8
	v_fma_f16 v10, v12, s5, v11
	ds_write_b32 v13, v1 offset:1944
	v_pack_b32_f16 v1, v9, v7
	v_pack_b32_f16 v5, v10, v8
	ds_write_b32 v13, v1 offset:4536
	ds_write_b32 v13, v5 offset:7128
.LBB0_31:
	s_or_b64 exec, exec, s[2:3]
	s_waitcnt lgkmcnt(0)
	s_barrier
	ds_read_b32 v5, v13
	s_add_u32 s4, s8, 0x1e54
	v_lshlrev_b32_e32 v1, 2, v0
	s_addc_u32 s5, s9, 0
	v_sub_u32_e32 v10, 0, v1
	v_cmp_ne_u32_e32 vcc, 0, v0
                                        ; implicit-def: $vgpr16
                                        ; implicit-def: $vgpr11
                                        ; implicit-def: $vgpr12
                                        ; implicit-def: $vgpr8_vgpr9
	s_and_saveexec_b64 s[2:3], vcc
	s_xor_b64 s[2:3], exec, s[2:3]
	s_cbranch_execz .LBB0_33
; %bb.32:
	v_mov_b32_e32 v1, 0
	v_lshlrev_b64 v[7:8], 2, v[0:1]
	v_mov_b32_e32 v9, s5
	v_add_co_u32_e32 v7, vcc, s4, v7
	v_addc_co_u32_e32 v8, vcc, v9, v8, vcc
	global_load_dword v7, v[7:8], off
	ds_read_b32 v8, v10 offset:7776
	s_mov_b32 s6, 0xffff
	s_waitcnt lgkmcnt(0)
	v_pk_add_f16 v9, v5, v8 neg_lo:[0,1] neg_hi:[0,1]
	v_pk_add_f16 v5, v8, v5
	v_bfi_b32 v8, s6, v9, v5
	v_bfi_b32 v5, s6, v5, v9
	v_pk_mul_f16 v8, v8, 0.5 op_sel_hi:[1,0]
	v_pk_mul_f16 v9, v5, 0.5 op_sel_hi:[1,0]
	s_waitcnt vmcnt(0)
	v_pk_mul_f16 v11, v7, v8 op_sel:[1,0]
	v_pk_mul_f16 v7, v7, v8 op_sel_hi:[0,1]
	v_pk_fma_f16 v5, v5, 0.5, v11 op_sel_hi:[1,0,1]
	v_sub_f16_e32 v8, v9, v11
	v_sub_f16_sdwa v9, v11, v9 dst_sel:DWORD dst_unused:UNUSED_PAD src0_sel:WORD_1 src1_sel:WORD_1
	v_pk_add_f16 v16, v5, v7 op_sel:[0,1] op_sel_hi:[1,0]
	v_pk_add_f16 v5, v5, v7 op_sel:[0,1] op_sel_hi:[1,0] neg_lo:[0,1] neg_hi:[0,1]
	v_sub_f16_sdwa v11, v8, v7 dst_sel:DWORD dst_unused:UNUSED_PAD src0_sel:DWORD src1_sel:WORD_1
	v_sub_f16_e32 v12, v9, v7
	v_mov_b32_e32 v9, v1
	v_bfi_b32 v16, s6, v16, v5
	v_mov_b32_e32 v8, v0
                                        ; implicit-def: $vgpr5
.LBB0_33:
	s_andn2_saveexec_b64 s[2:3], s[2:3]
	s_cbranch_execz .LBB0_35
; %bb.34:
	v_mov_b32_e32 v12, 0
	ds_read_u16 v1, v12 offset:3890
	s_waitcnt lgkmcnt(1)
	v_alignbit_b32 v7, s0, v5, 16
	v_sub_f16_sdwa v11, v5, v5 dst_sel:DWORD dst_unused:UNUSED_PAD src0_sel:DWORD src1_sel:WORD_1
	v_mov_b32_e32 v8, 0
	v_pk_add_f16 v5, v7, v5
	v_mov_b32_e32 v9, 0
	s_waitcnt lgkmcnt(0)
	v_xor_b32_e32 v1, 0x8000, v1
	v_pack_b32_f16 v16, v5, 0
	ds_write_b16 v12, v1 offset:3890
.LBB0_35:
	s_or_b64 exec, exec, s[2:3]
	s_waitcnt lgkmcnt(0)
	v_mov_b32_e32 v5, 0
	v_lshlrev_b64 v[17:18], 2, v[4:5]
	v_mov_b32_e32 v1, s5
	v_add_co_u32_e32 v17, vcc, s4, v17
	v_addc_co_u32_e32 v18, vcc, v1, v18, vcc
	global_load_dword v1, v[17:18], off
	v_mov_b32_e32 v7, v5
	v_lshlrev_b64 v[4:5], 2, v[6:7]
	v_mov_b32_e32 v17, s5
	v_add_co_u32_e32 v4, vcc, s4, v4
	v_addc_co_u32_e32 v5, vcc, v17, v5, vcc
	global_load_dword v17, v[4:5], off
	v_lshlrev_b64 v[4:5], 2, v[8:9]
	v_mov_b32_e32 v7, s5
	v_add_co_u32_e32 v6, vcc, s4, v4
	v_addc_co_u32_e32 v7, vcc, v7, v5, vcc
	global_load_dword v6, v[6:7], off offset:2916
	ds_write_b16 v10, v12 offset:7778
	ds_write_b32 v13, v16
	ds_write_b16 v10, v11 offset:7776
	ds_read_b32 v7, v15
	ds_read_b32 v8, v10 offset:6804
	s_mov_b32 s2, 0xffff
	s_waitcnt lgkmcnt(0)
	v_pk_add_f16 v9, v7, v8 neg_lo:[0,1] neg_hi:[0,1]
	v_pk_add_f16 v7, v7, v8
	v_bfi_b32 v8, s2, v9, v7
	v_bfi_b32 v7, s2, v7, v9
	v_pk_mul_f16 v8, v8, 0.5 op_sel_hi:[1,0]
	v_pk_mul_f16 v7, v7, 0.5 op_sel_hi:[1,0]
	s_waitcnt vmcnt(2)
	v_pk_fma_f16 v9, v1, v8, v7 op_sel:[1,0,0]
	v_pk_mul_f16 v11, v1, v8 op_sel_hi:[0,1]
	v_pk_fma_f16 v12, v1, v8, v7 op_sel:[1,0,0] neg_lo:[1,0,0] neg_hi:[1,0,0]
	v_pk_fma_f16 v1, v1, v8, v7 op_sel:[1,0,0] neg_lo:[0,0,1] neg_hi:[0,0,1]
	v_pk_add_f16 v7, v9, v11 op_sel:[0,1] op_sel_hi:[1,0]
	v_pk_add_f16 v8, v9, v11 op_sel:[0,1] op_sel_hi:[1,0] neg_lo:[0,1] neg_hi:[0,1]
	v_pk_add_f16 v9, v12, v11 op_sel:[0,1] op_sel_hi:[1,0] neg_lo:[0,1] neg_hi:[0,1]
	;; [unrolled: 1-line block ×3, first 2 shown]
	v_bfi_b32 v7, s2, v7, v8
	v_bfi_b32 v1, s2, v9, v1
	ds_write_b32 v15, v7
	ds_write_b32 v10, v1 offset:6804
	ds_read_b32 v1, v14
	ds_read_b32 v7, v10 offset:5832
	s_waitcnt lgkmcnt(0)
	v_pk_add_f16 v8, v1, v7 neg_lo:[0,1] neg_hi:[0,1]
	v_pk_add_f16 v1, v1, v7
	v_bfi_b32 v7, s2, v8, v1
	v_bfi_b32 v1, s2, v1, v8
	v_pk_mul_f16 v7, v7, 0.5 op_sel_hi:[1,0]
	v_pk_mul_f16 v1, v1, 0.5 op_sel_hi:[1,0]
	s_waitcnt vmcnt(1)
	v_pk_fma_f16 v8, v17, v7, v1 op_sel:[1,0,0]
	v_pk_mul_f16 v9, v17, v7 op_sel_hi:[0,1]
	v_pk_fma_f16 v11, v17, v7, v1 op_sel:[1,0,0] neg_lo:[1,0,0] neg_hi:[1,0,0]
	v_pk_fma_f16 v1, v17, v7, v1 op_sel:[1,0,0] neg_lo:[0,0,1] neg_hi:[0,0,1]
	v_pk_add_f16 v7, v8, v9 op_sel:[0,1] op_sel_hi:[1,0]
	v_pk_add_f16 v8, v8, v9 op_sel:[0,1] op_sel_hi:[1,0] neg_lo:[0,1] neg_hi:[0,1]
	v_pk_add_f16 v11, v11, v9 op_sel:[0,1] op_sel_hi:[1,0] neg_lo:[0,1] neg_hi:[0,1]
	;; [unrolled: 1-line block ×3, first 2 shown]
	v_bfi_b32 v7, s2, v7, v8
	v_bfi_b32 v1, s2, v11, v1
	ds_write_b32 v14, v7
	ds_write_b32 v10, v1 offset:5832
	ds_read_b32 v1, v13 offset:2916
	ds_read_b32 v7, v10 offset:4860
	s_waitcnt lgkmcnt(0)
	v_pk_add_f16 v8, v1, v7 neg_lo:[0,1] neg_hi:[0,1]
	v_pk_add_f16 v1, v1, v7
	v_bfi_b32 v7, s2, v8, v1
	v_bfi_b32 v1, s2, v1, v8
	v_pk_mul_f16 v7, v7, 0.5 op_sel_hi:[1,0]
	v_pk_mul_f16 v1, v1, 0.5 op_sel_hi:[1,0]
	s_waitcnt vmcnt(0)
	v_pk_fma_f16 v8, v6, v7, v1 op_sel:[1,0,0]
	v_pk_mul_f16 v9, v6, v7 op_sel_hi:[0,1]
	v_pk_fma_f16 v11, v6, v7, v1 op_sel:[1,0,0] neg_lo:[1,0,0] neg_hi:[1,0,0]
	v_pk_fma_f16 v1, v6, v7, v1 op_sel:[1,0,0] neg_lo:[0,0,1] neg_hi:[0,0,1]
	v_pk_add_f16 v6, v8, v9 op_sel:[0,1] op_sel_hi:[1,0]
	v_pk_add_f16 v7, v8, v9 op_sel:[0,1] op_sel_hi:[1,0] neg_lo:[0,1] neg_hi:[0,1]
	v_pk_add_f16 v8, v11, v9 op_sel:[0,1] op_sel_hi:[1,0] neg_lo:[0,1] neg_hi:[0,1]
	;; [unrolled: 1-line block ×3, first 2 shown]
	v_bfi_b32 v6, s2, v6, v7
	v_bfi_b32 v1, s2, v8, v1
	ds_write_b32 v13, v6 offset:2916
	ds_write_b32 v10, v1 offset:4860
	s_waitcnt lgkmcnt(0)
	s_barrier
	s_and_saveexec_b64 s[2:3], s[0:1]
	s_cbranch_execz .LBB0_38
; %bb.36:
	v_mov_b32_e32 v1, s13
	v_add_co_u32_e32 v2, vcc, s12, v2
	v_addc_co_u32_e32 v1, vcc, v1, v3, vcc
	ds_read2_b32 v[6:7], v13 offset1:243
	v_add_co_u32_e32 v3, vcc, v2, v4
	v_addc_co_u32_e32 v4, vcc, v1, v5, vcc
	v_add_u32_e32 v5, 0x780, v13
	ds_read2_b32 v[8:9], v5 offset0:6 offset1:249
	v_add_u32_e32 v5, 0xf00, v13
	ds_read2_b32 v[10:11], v5 offset0:12 offset1:255
	s_waitcnt lgkmcnt(2)
	global_store_dword v[3:4], v6, off
	global_store_dword v[3:4], v7, off offset:972
	s_waitcnt lgkmcnt(1)
	global_store_dword v[3:4], v8, off offset:1944
	global_store_dword v[3:4], v9, off offset:2916
	s_waitcnt lgkmcnt(0)
	global_store_dword v[3:4], v10, off offset:3888
	v_add_u32_e32 v5, 0x16c0, v13
	ds_read2_b32 v[5:6], v5 offset0:2 offset1:245
	v_add_co_u32_e32 v3, vcc, 0x1000, v3
	v_addc_co_u32_e32 v4, vcc, 0, v4, vcc
	s_movk_i32 s0, 0xf2
	v_cmp_eq_u32_e32 vcc, s0, v0
	global_store_dword v[3:4], v11, off offset:764
	s_waitcnt lgkmcnt(0)
	global_store_dword v[3:4], v5, off offset:1736
	global_store_dword v[3:4], v6, off offset:2708
	s_and_b64 exec, exec, vcc
	s_cbranch_execz .LBB0_38
; %bb.37:
	v_mov_b32_e32 v0, 0
	ds_read_b32 v3, v0 offset:7776
	v_add_co_u32_e32 v0, vcc, 0x1000, v2
	v_addc_co_u32_e32 v1, vcc, 0, v1, vcc
	s_waitcnt lgkmcnt(0)
	global_store_dword v[0:1], v3, off offset:3680
.LBB0_38:
	s_endpgm
	.section	.rodata,"a",@progbits
	.p2align	6, 0x0
	.amdhsa_kernel fft_rtc_fwd_len1944_factors_3_3_3_3_8_3_wgs_243_tpt_243_halfLds_half_ip_CI_unitstride_sbrr_R2C_dirReg
		.amdhsa_group_segment_fixed_size 0
		.amdhsa_private_segment_fixed_size 0
		.amdhsa_kernarg_size 88
		.amdhsa_user_sgpr_count 6
		.amdhsa_user_sgpr_private_segment_buffer 1
		.amdhsa_user_sgpr_dispatch_ptr 0
		.amdhsa_user_sgpr_queue_ptr 0
		.amdhsa_user_sgpr_kernarg_segment_ptr 1
		.amdhsa_user_sgpr_dispatch_id 0
		.amdhsa_user_sgpr_flat_scratch_init 0
		.amdhsa_user_sgpr_private_segment_size 0
		.amdhsa_uses_dynamic_stack 0
		.amdhsa_system_sgpr_private_segment_wavefront_offset 0
		.amdhsa_system_sgpr_workgroup_id_x 1
		.amdhsa_system_sgpr_workgroup_id_y 0
		.amdhsa_system_sgpr_workgroup_id_z 0
		.amdhsa_system_sgpr_workgroup_info 0
		.amdhsa_system_vgpr_workitem_id 0
		.amdhsa_next_free_vgpr 41
		.amdhsa_next_free_sgpr 22
		.amdhsa_reserve_vcc 1
		.amdhsa_reserve_flat_scratch 0
		.amdhsa_float_round_mode_32 0
		.amdhsa_float_round_mode_16_64 0
		.amdhsa_float_denorm_mode_32 3
		.amdhsa_float_denorm_mode_16_64 3
		.amdhsa_dx10_clamp 1
		.amdhsa_ieee_mode 1
		.amdhsa_fp16_overflow 0
		.amdhsa_exception_fp_ieee_invalid_op 0
		.amdhsa_exception_fp_denorm_src 0
		.amdhsa_exception_fp_ieee_div_zero 0
		.amdhsa_exception_fp_ieee_overflow 0
		.amdhsa_exception_fp_ieee_underflow 0
		.amdhsa_exception_fp_ieee_inexact 0
		.amdhsa_exception_int_div_zero 0
	.end_amdhsa_kernel
	.text
.Lfunc_end0:
	.size	fft_rtc_fwd_len1944_factors_3_3_3_3_8_3_wgs_243_tpt_243_halfLds_half_ip_CI_unitstride_sbrr_R2C_dirReg, .Lfunc_end0-fft_rtc_fwd_len1944_factors_3_3_3_3_8_3_wgs_243_tpt_243_halfLds_half_ip_CI_unitstride_sbrr_R2C_dirReg
                                        ; -- End function
	.section	.AMDGPU.csdata,"",@progbits
; Kernel info:
; codeLenInByte = 7644
; NumSgprs: 26
; NumVgprs: 41
; ScratchSize: 0
; MemoryBound: 0
; FloatMode: 240
; IeeeMode: 1
; LDSByteSize: 0 bytes/workgroup (compile time only)
; SGPRBlocks: 3
; VGPRBlocks: 10
; NumSGPRsForWavesPerEU: 26
; NumVGPRsForWavesPerEU: 41
; Occupancy: 5
; WaveLimiterHint : 1
; COMPUTE_PGM_RSRC2:SCRATCH_EN: 0
; COMPUTE_PGM_RSRC2:USER_SGPR: 6
; COMPUTE_PGM_RSRC2:TRAP_HANDLER: 0
; COMPUTE_PGM_RSRC2:TGID_X_EN: 1
; COMPUTE_PGM_RSRC2:TGID_Y_EN: 0
; COMPUTE_PGM_RSRC2:TGID_Z_EN: 0
; COMPUTE_PGM_RSRC2:TIDIG_COMP_CNT: 0
	.type	__hip_cuid_d970477a4d509169,@object ; @__hip_cuid_d970477a4d509169
	.section	.bss,"aw",@nobits
	.globl	__hip_cuid_d970477a4d509169
__hip_cuid_d970477a4d509169:
	.byte	0                               ; 0x0
	.size	__hip_cuid_d970477a4d509169, 1

	.ident	"AMD clang version 19.0.0git (https://github.com/RadeonOpenCompute/llvm-project roc-6.4.0 25133 c7fe45cf4b819c5991fe208aaa96edf142730f1d)"
	.section	".note.GNU-stack","",@progbits
	.addrsig
	.addrsig_sym __hip_cuid_d970477a4d509169
	.amdgpu_metadata
---
amdhsa.kernels:
  - .args:
      - .actual_access:  read_only
        .address_space:  global
        .offset:         0
        .size:           8
        .value_kind:     global_buffer
      - .offset:         8
        .size:           8
        .value_kind:     by_value
      - .actual_access:  read_only
        .address_space:  global
        .offset:         16
        .size:           8
        .value_kind:     global_buffer
      - .actual_access:  read_only
        .address_space:  global
        .offset:         24
        .size:           8
        .value_kind:     global_buffer
      - .offset:         32
        .size:           8
        .value_kind:     by_value
      - .actual_access:  read_only
        .address_space:  global
        .offset:         40
        .size:           8
        .value_kind:     global_buffer
      - .actual_access:  read_only
        .address_space:  global
        .offset:         48
        .size:           8
        .value_kind:     global_buffer
      - .offset:         56
        .size:           4
        .value_kind:     by_value
      - .actual_access:  read_only
        .address_space:  global
        .offset:         64
        .size:           8
        .value_kind:     global_buffer
      - .actual_access:  read_only
        .address_space:  global
        .offset:         72
        .size:           8
        .value_kind:     global_buffer
      - .address_space:  global
        .offset:         80
        .size:           8
        .value_kind:     global_buffer
    .group_segment_fixed_size: 0
    .kernarg_segment_align: 8
    .kernarg_segment_size: 88
    .language:       OpenCL C
    .language_version:
      - 2
      - 0
    .max_flat_workgroup_size: 243
    .name:           fft_rtc_fwd_len1944_factors_3_3_3_3_8_3_wgs_243_tpt_243_halfLds_half_ip_CI_unitstride_sbrr_R2C_dirReg
    .private_segment_fixed_size: 0
    .sgpr_count:     26
    .sgpr_spill_count: 0
    .symbol:         fft_rtc_fwd_len1944_factors_3_3_3_3_8_3_wgs_243_tpt_243_halfLds_half_ip_CI_unitstride_sbrr_R2C_dirReg.kd
    .uniform_work_group_size: 1
    .uses_dynamic_stack: false
    .vgpr_count:     41
    .vgpr_spill_count: 0
    .wavefront_size: 64
amdhsa.target:   amdgcn-amd-amdhsa--gfx906
amdhsa.version:
  - 1
  - 2
...

	.end_amdgpu_metadata
